;; amdgpu-corpus repo=zjin-lcf/HeCBench kind=compiled arch=gfx1250 opt=O3
	.amdgcn_target "amdgcn-amd-amdhsa--gfx1250"
	.amdhsa_code_object_version 6
	.text
	.protected	_Z10insertionsPdPK13StructureAtomid ; -- Begin function _Z10insertionsPdPK13StructureAtomid
	.globl	_Z10insertionsPdPK13StructureAtomid
	.p2align	8
	.type	_Z10insertionsPdPK13StructureAtomid,@function
_Z10insertionsPdPK13StructureAtomid:    ; @_Z10insertionsPdPK13StructureAtomid
; %bb.0:
	s_load_b32 s20, s[0:1], 0x10
	s_bfe_u32 s2, ttmp6, 0x4000c
	s_and_b32 s3, ttmp6, 15
	s_add_co_i32 s2, s2, 1
	s_getreg_b32 s4, hwreg(HW_REG_IB_STS2, 6, 4)
	s_mul_i32 s2, ttmp9, s2
	s_mov_b32 s21, 0
	s_add_co_i32 s3, s3, s2
	s_cmp_eq_u32 s4, 0
	s_cselect_b32 s2, ttmp9, s3
	s_delay_alu instid0(SALU_CYCLE_1) | instskip(NEXT) | instid1(VALU_DEP_1)
	v_lshl_add_u32 v0, s2, 8, v0
	v_ashrrev_i32_e32 v1, 31, v0
	s_wait_kmcnt 0x0
	s_cmp_lt_i32 s20, 1
	s_cbranch_scc1 .LBB0_3
; %bb.1:
	v_mad_nc_u64_u32 v[2:3], 0xe48e2825, v0, 1
	s_mov_b64 s[2:3], 0x26f19d38e48e2826
	s_load_b64 s[12:13], s[0:1], 0x18
	v_mov_b64_e32 v[14:15], 0x3e928af3fca7ab0c
	s_mov_b64 s[14:15], 0x3fe5555555555555
	s_mov_b64 s[16:17], 0x3fe62e42fefa39ef
                                        ; implicit-def: $vgpr16_vgpr17
                                        ; implicit-def: $vgpr16_vgpr17
	;; [unrolled: 1-line block ×15, first 2 shown]
	s_delay_alu instid0(VALU_DEP_2) | instskip(NEXT) | instid1(VALU_DEP_1)
	v_mad_u32 v3, 0xe48e2825, v1, v3
	v_mad_u32 v3, 0x26f19d38, v0, v3
	s_delay_alu instid0(VALU_DEP_1) | instskip(SKIP_1) | instid1(VALU_DEP_1)
	v_mul_u64_e32 v[4:5], 0x26f19d38e48e2825, v[2:3]
	v_and_b32_e32 v3, 0x7fffffff, v3
	v_cvt_f64_u32_e32 v[8:9], v3
	v_cvt_f64_u32_e32 v[2:3], v2
	s_delay_alu instid0(VALU_DEP_4) | instskip(SKIP_1) | instid1(VALU_DEP_3)
	v_mad_nc_u64_u32 v[6:7], 0xe48e2825, v4, s[2:3]
	s_load_b64 s[2:3], s[0:1], 0x8
	v_ldexp_f64 v[8:9], v[8:9], 32
	s_delay_alu instid0(VALU_DEP_2) | instskip(SKIP_2) | instid1(VALU_DEP_1)
	v_mad_u32 v7, 0xe48e2825, v5, v7
	s_wait_kmcnt 0x0
	s_add_nc_u64 s[18:19], s[2:3], 16
	v_mad_u32 v7, 0x26f19d38, v4, v7
	v_add_nc_u64_e32 v[4:5], 1, v[4:5]
	s_delay_alu instid0(VALU_DEP_1) | instskip(NEXT) | instid1(VALU_DEP_3)
	v_and_b32_e32 v5, 0x7fffffff, v5
	v_and_b32_e32 v7, 0x7fffffff, v7
	s_delay_alu instid0(VALU_DEP_2) | instskip(NEXT) | instid1(VALU_DEP_4)
	v_cvt_f64_u32_e32 v[10:11], v5
	v_cvt_f64_u32_e32 v[4:5], v4
	v_add_f64_e32 v[2:3], v[8:9], v[2:3]
	s_delay_alu instid0(VALU_DEP_4) | instskip(SKIP_2) | instid1(VALU_DEP_4)
	v_cvt_f64_u32_e32 v[12:13], v7
	v_cvt_f64_u32_e32 v[6:7], v6
	v_ldexp_f64 v[10:11], v[10:11], 32
	v_ldexp_f64 v[2:3], v[2:3], 0xffffffc1
	s_delay_alu instid0(VALU_DEP_4) | instskip(NEXT) | instid1(VALU_DEP_3)
	v_ldexp_f64 v[12:13], v[12:13], 32
	v_add_f64_e32 v[4:5], v[10:11], v[4:5]
	s_delay_alu instid0(VALU_DEP_2) | instskip(SKIP_1) | instid1(VALU_DEP_3)
	v_add_f64_e32 v[6:7], v[12:13], v[6:7]
	v_mov_b64_e32 v[12:13], 0x3fba6564968915a9
	v_ldexp_f64 v[8:9], v[4:5], 0xffffffc1
	v_mul_f64_e32 v[4:5], s[12:13], v[2:3]
	v_mov_b64_e32 v[2:3], 0
	v_ldexp_f64 v[10:11], v[6:7], 0xffffffc1
	s_delay_alu instid0(VALU_DEP_4) | instskip(NEXT) | instid1(VALU_DEP_2)
	v_mul_f64_e32 v[6:7], s[12:13], v[8:9]
	v_mul_f64_e32 v[8:9], s[12:13], v[10:11]
	v_mul_f64_e64 v[10:11], s[12:13], 0.5
.LBB0_2:                                ; =>This Inner Loop Header: Depth=1
	s_add_nc_u64 s[2:3], s[18:19], -16
	s_add_co_i32 s21, s21, 1
	s_load_b256 s[4:11], s[2:3], 0x0
	s_wait_kmcnt 0x0
	s_delay_alu instid0(VALU_DEP_3) | instskip(SKIP_1) | instid1(VALU_DEP_4)
	v_add_f64_e64 v[16:17], v[6:7], -s[6:7]
	v_add_f64_e64 v[18:19], v[4:5], -s[4:5]
	;; [unrolled: 1-line block ×3, first 2 shown]
	s_delay_alu instid0(VALU_DEP_3) | instskip(SKIP_1) | instid1(VALU_DEP_4)
	v_add_f64_e64 v[20:21], v[16:17], -s[12:13]
	v_cmp_gt_f64_e32 vcc_lo, v[16:17], v[10:11]
	v_add_f64_e64 v[24:25], v[18:19], -s[12:13]
	v_cmp_gt_f64_e64 s2, v[18:19], v[10:11]
	v_add_f64_e64 v[26:27], v[22:23], -s[12:13]
	v_cmp_nle_f64_e64 s3, v[22:23], -v[10:11]
	v_dual_cndmask_b32 v17, v17, v21 :: v_dual_cndmask_b32 v16, v16, v20
	s_delay_alu instid0(VALU_DEP_4) | instskip(NEXT) | instid1(VALU_DEP_2)
	v_dual_cndmask_b32 v19, v19, v25, s2 :: v_dual_cndmask_b32 v18, v18, v24, s2
	v_add_f64_e64 v[20:21], v[16:17], -s[12:13]
	v_cmp_nle_f64_e64 vcc_lo, v[16:17], -v[10:11]
	s_delay_alu instid0(VALU_DEP_3) | instskip(SKIP_1) | instid1(VALU_DEP_4)
	v_add_f64_e64 v[24:25], v[18:19], -s[12:13]
	v_cmp_gt_f64_e64 s2, v[18:19], v[10:11]
	v_dual_cndmask_b32 v17, v21, v17 :: v_dual_cndmask_b32 v16, v20, v16
	v_dual_cndmask_b32 v21, v27, v23, s3 :: v_dual_cndmask_b32 v20, v26, v22, s3
	s_delay_alu instid0(VALU_DEP_3) | instskip(NEXT) | instid1(VALU_DEP_3)
	v_cndmask_b32_e64 v19, v19, v25, s2
	v_mul_f64_e32 v[16:17], v[16:17], v[16:17]
	s_delay_alu instid0(VALU_DEP_3)
	v_add_f64_e64 v[22:23], v[20:21], -s[12:13]
	v_cmp_nle_f64_e64 vcc_lo, v[20:21], -v[10:11]
	v_cndmask_b32_e64 v18, v18, v24, s2
	s_load_b64 s[2:3], s[18:19], 0x10
	s_wait_xcnt 0x0
	s_add_nc_u64 s[18:19], s[18:19], 40
	s_delay_alu instid0(VALU_DEP_1) | instskip(SKIP_1) | instid1(VALU_DEP_1)
	v_fmac_f64_e32 v[16:17], v[18:19], v[18:19]
	v_dual_cndmask_b32 v19, v23, v21 :: v_dual_cndmask_b32 v18, v22, v20
	v_fmac_f64_e32 v[16:17], v[18:19], v[18:19]
	s_delay_alu instid0(VALU_DEP_1) | instskip(SKIP_1) | instid1(VALU_DEP_1)
	v_cmp_gt_f64_e32 vcc_lo, 0x10000000, v[16:17]
	v_cndmask_b32_e64 v18, 0, 0x100, vcc_lo
	v_ldexp_f64 v[16:17], v[16:17], v18
	s_delay_alu instid0(VALU_DEP_1) | instskip(SKIP_1) | instid1(TRANS32_DEP_1)
	v_rsq_f64_e32 v[18:19], v[16:17]
	v_nop
	v_mul_f64_e32 v[20:21], v[16:17], v[18:19]
	v_mul_f64_e32 v[18:19], 0.5, v[18:19]
	s_delay_alu instid0(VALU_DEP_1) | instskip(NEXT) | instid1(VALU_DEP_1)
	v_fma_f64 v[22:23], -v[18:19], v[20:21], 0.5
	v_fmac_f64_e32 v[20:21], v[20:21], v[22:23]
	v_fmac_f64_e32 v[18:19], v[18:19], v[22:23]
	s_delay_alu instid0(VALU_DEP_2) | instskip(NEXT) | instid1(VALU_DEP_1)
	v_fma_f64 v[22:23], -v[20:21], v[20:21], v[16:17]
	v_fmac_f64_e32 v[20:21], v[22:23], v[18:19]
	s_delay_alu instid0(VALU_DEP_1) | instskip(NEXT) | instid1(VALU_DEP_1)
	v_fma_f64 v[22:23], -v[20:21], v[20:21], v[16:17]
	v_fmac_f64_e32 v[20:21], v[22:23], v[18:19]
	v_cndmask_b32_e64 v18, 0, 0xffffff80, vcc_lo
	v_cmp_class_f64_e64 vcc_lo, v[16:17], 0x260
	s_delay_alu instid0(VALU_DEP_2) | instskip(NEXT) | instid1(VALU_DEP_1)
	v_ldexp_f64 v[18:19], v[20:21], v18
	v_dual_cndmask_b32 v17, v19, v17 :: v_dual_cndmask_b32 v16, v18, v16
	s_delay_alu instid0(VALU_DEP_1) | instskip(SKIP_1) | instid1(VALU_DEP_2)
	v_div_scale_f64 v[18:19], null, v[16:17], v[16:17], 1.0
	v_div_scale_f64 v[24:25], vcc_lo, 1.0, v[16:17], 1.0
	v_rcp_f64_e32 v[20:21], v[18:19]
	v_nop
	s_delay_alu instid0(TRANS32_DEP_1) | instskip(NEXT) | instid1(VALU_DEP_1)
	v_fma_f64 v[22:23], -v[18:19], v[20:21], 1.0
	v_fmac_f64_e32 v[20:21], v[20:21], v[22:23]
	s_delay_alu instid0(VALU_DEP_1) | instskip(NEXT) | instid1(VALU_DEP_1)
	v_fma_f64 v[22:23], -v[18:19], v[20:21], 1.0
	v_fmac_f64_e32 v[20:21], v[20:21], v[22:23]
	s_delay_alu instid0(VALU_DEP_1) | instskip(NEXT) | instid1(VALU_DEP_1)
	v_mul_f64_e32 v[22:23], v[24:25], v[20:21]
	v_fma_f64 v[18:19], -v[18:19], v[22:23], v[24:25]
	s_delay_alu instid0(VALU_DEP_1) | instskip(NEXT) | instid1(VALU_DEP_1)
	v_div_fmas_f64 v[18:19], v[18:19], v[20:21], v[22:23]
	v_div_fixup_f64 v[16:17], v[18:19], v[16:17], 1.0
	s_wait_kmcnt 0x0
	s_delay_alu instid0(VALU_DEP_1) | instskip(NEXT) | instid1(VALU_DEP_1)
	v_mul_f64_e32 v[16:17], s[2:3], v[16:17]
	v_frexp_mant_f64_e64 v[18:19], |v[16:17]|
	s_delay_alu instid0(VALU_DEP_1) | instskip(SKIP_1) | instid1(VALU_DEP_1)
	v_cmp_gt_f64_e32 vcc_lo, s[14:15], v[18:19]
	v_cndmask_b32_e64 v20, 0, 1, vcc_lo
	v_ldexp_f64 v[18:19], v[18:19], v20
	s_delay_alu instid0(VALU_DEP_1) | instskip(SKIP_1) | instid1(VALU_DEP_2)
	v_add_f64_e32 v[20:21], 1.0, v[18:19]
	v_add_f64_e32 v[26:27], -1.0, v[18:19]
	v_rcp_f64_e32 v[22:23], v[20:21]
	v_add_f64_e32 v[28:29], -1.0, v[20:21]
	s_delay_alu instid0(VALU_DEP_1) | instskip(NEXT) | instid1(TRANS32_DEP_1)
	v_add_f64_e64 v[18:19], v[18:19], -v[28:29]
	v_fma_f64 v[24:25], -v[20:21], v[22:23], 1.0
	s_delay_alu instid0(VALU_DEP_1) | instskip(NEXT) | instid1(VALU_DEP_1)
	v_fmac_f64_e32 v[22:23], v[24:25], v[22:23]
	v_fma_f64 v[24:25], -v[20:21], v[22:23], 1.0
	s_delay_alu instid0(VALU_DEP_1) | instskip(NEXT) | instid1(VALU_DEP_1)
	v_fmac_f64_e32 v[22:23], v[24:25], v[22:23]
	v_mul_f64_e32 v[24:25], v[26:27], v[22:23]
	s_delay_alu instid0(VALU_DEP_1) | instskip(NEXT) | instid1(VALU_DEP_1)
	v_mul_f64_e32 v[30:31], v[20:21], v[24:25]
	v_fma_f64 v[20:21], v[24:25], v[20:21], -v[30:31]
	s_delay_alu instid0(VALU_DEP_1) | instskip(NEXT) | instid1(VALU_DEP_1)
	v_fmac_f64_e32 v[20:21], v[24:25], v[18:19]
	v_add_f64_e32 v[18:19], v[30:31], v[20:21]
	s_delay_alu instid0(VALU_DEP_1) | instskip(SKIP_1) | instid1(VALU_DEP_2)
	v_add_f64_e64 v[28:29], v[26:27], -v[18:19]
	v_add_f64_e64 v[30:31], v[18:19], -v[30:31]
	;; [unrolled: 1-line block ×3, first 2 shown]
	s_delay_alu instid0(VALU_DEP_2) | instskip(NEXT) | instid1(VALU_DEP_2)
	v_add_f64_e64 v[20:21], v[30:31], -v[20:21]
	v_add_f64_e64 v[18:19], v[26:27], -v[18:19]
	s_delay_alu instid0(VALU_DEP_1) | instskip(NEXT) | instid1(VALU_DEP_1)
	v_add_f64_e32 v[18:19], v[20:21], v[18:19]
	v_add_f64_e32 v[18:19], v[28:29], v[18:19]
	s_delay_alu instid0(VALU_DEP_1) | instskip(NEXT) | instid1(VALU_DEP_1)
	v_mul_f64_e32 v[18:19], v[22:23], v[18:19]
	v_add_f64_e32 v[20:21], v[24:25], v[18:19]
	s_delay_alu instid0(VALU_DEP_1) | instskip(SKIP_1) | instid1(VALU_DEP_2)
	v_add_f64_e64 v[22:23], v[20:21], -v[24:25]
	v_mul_f64_e32 v[24:25], v[20:21], v[20:21]
	v_add_f64_e64 v[18:19], v[18:19], -v[22:23]
	s_delay_alu instid0(VALU_DEP_2) | instskip(NEXT) | instid1(VALU_DEP_2)
	v_fma_f64 v[22:23], v[20:21], v[20:21], -v[24:25]
	v_add_f64_e32 v[26:27], v[18:19], v[18:19]
	s_delay_alu instid0(VALU_DEP_1) | instskip(NEXT) | instid1(VALU_DEP_1)
	v_fmac_f64_e32 v[22:23], v[20:21], v[26:27]
	v_add_f64_e32 v[26:27], v[24:25], v[22:23]
	s_delay_alu instid0(VALU_DEP_1) | instskip(SKIP_2) | instid1(VALU_DEP_3)
	v_fmamk_f64 v[28:29], v[26:27], 0x3fbdee674222de17, v[12:13]
	v_add_f64_e64 v[24:25], v[26:27], -v[24:25]
	v_mul_f64_e32 v[32:33], v[20:21], v[26:27]
	v_fmaak_f64 v[28:29], v[26:27], v[28:29], 0x3fbe25e43abe935a
	s_delay_alu instid0(VALU_DEP_1) | instskip(NEXT) | instid1(VALU_DEP_1)
	v_fmaak_f64 v[28:29], v[26:27], v[28:29], 0x3fc110ef47e6c9c2
	v_fmaak_f64 v[28:29], v[26:27], v[28:29], 0x3fc3b13bcfa74449
	s_delay_alu instid0(VALU_DEP_1) | instskip(SKIP_2) | instid1(VALU_DEP_3)
	v_fmaak_f64 v[28:29], v[26:27], v[28:29], 0x3fc745d171bf3c30
	v_add_f64_e64 v[22:23], v[22:23], -v[24:25]
	v_fma_f64 v[36:37], v[26:27], v[20:21], -v[32:33]
	v_fmaak_f64 v[28:29], v[26:27], v[28:29], 0x3fcc71c71c7792ce
	s_delay_alu instid0(VALU_DEP_1) | instskip(NEXT) | instid1(VALU_DEP_1)
	v_fmaak_f64 v[28:29], v[26:27], v[28:29], 0x3fd24924924920da
	v_fmaak_f64 v[28:29], v[26:27], v[28:29], 0x3fd999999999999c
	s_delay_alu instid0(VALU_DEP_1) | instskip(SKIP_2) | instid1(VALU_DEP_3)
	v_mul_f64_e32 v[30:31], v[26:27], v[28:29]
	v_fmac_f64_e32 v[36:37], v[26:27], v[18:19]
	v_ldexp_f64 v[18:19], v[18:19], 1
	v_fma_f64 v[24:25], v[26:27], v[28:29], -v[30:31]
	s_delay_alu instid0(VALU_DEP_3) | instskip(SKIP_1) | instid1(VALU_DEP_3)
	v_fmac_f64_e32 v[36:37], v[22:23], v[20:21]
	v_ldexp_f64 v[20:21], v[20:21], 1
	v_fmac_f64_e32 v[24:25], v[22:23], v[28:29]
	s_delay_alu instid0(VALU_DEP_1) | instskip(NEXT) | instid1(VALU_DEP_1)
	v_add_f64_e32 v[28:29], v[30:31], v[24:25]
	v_add_f64_e32 v[34:35], 0x3fe5555555555555, v[28:29]
	v_add_f64_e64 v[30:31], v[28:29], -v[30:31]
	s_delay_alu instid0(VALU_DEP_2) | instskip(NEXT) | instid1(VALU_DEP_2)
	v_add_f64_e32 v[38:39], 0xbfe5555555555555, v[34:35]
	v_add_f64_e64 v[24:25], v[24:25], -v[30:31]
	s_delay_alu instid0(VALU_DEP_2) | instskip(NEXT) | instid1(VALU_DEP_2)
	v_add_f64_e64 v[26:27], v[28:29], -v[38:39]
	v_add_f64_e32 v[24:25], 0x3c8543b0d5df274d, v[24:25]
	s_delay_alu instid0(VALU_DEP_1) | instskip(SKIP_1) | instid1(VALU_DEP_2)
	v_add_f64_e32 v[22:23], v[24:25], v[26:27]
	v_add_f64_e32 v[24:25], v[32:33], v[36:37]
	;; [unrolled: 1-line block ×3, first 2 shown]
	s_delay_alu instid0(VALU_DEP_2) | instskip(NEXT) | instid1(VALU_DEP_2)
	v_add_f64_e64 v[32:33], v[24:25], -v[32:33]
	v_add_f64_e64 v[28:29], v[34:35], -v[26:27]
	v_mul_f64_e32 v[30:31], v[24:25], v[26:27]
	s_delay_alu instid0(VALU_DEP_3) | instskip(NEXT) | instid1(VALU_DEP_3)
	v_add_f64_e64 v[32:33], v[36:37], -v[32:33]
	v_add_f64_e32 v[22:23], v[22:23], v[28:29]
	s_delay_alu instid0(VALU_DEP_3) | instskip(NEXT) | instid1(VALU_DEP_1)
	v_fma_f64 v[28:29], v[24:25], v[26:27], -v[30:31]
	v_fmac_f64_e32 v[28:29], v[24:25], v[22:23]
	v_frexp_exp_i32_f64_e32 v24, v[16:17]
	s_delay_alu instid0(VALU_DEP_2) | instskip(NEXT) | instid1(VALU_DEP_2)
	v_fmac_f64_e32 v[28:29], v[32:33], v[26:27]
	v_subrev_co_ci_u32_e64 v24, null, 0, v24, vcc_lo
	s_delay_alu instid0(VALU_DEP_1) | instskip(NEXT) | instid1(VALU_DEP_3)
	v_cvt_f64_i32_e32 v[24:25], v24
	v_add_f64_e32 v[22:23], v[30:31], v[28:29]
	s_delay_alu instid0(VALU_DEP_2) | instskip(NEXT) | instid1(VALU_DEP_2)
	v_mul_f64_e32 v[32:33], 0x3fe62e42fefa39ef, v[24:25]
	v_add_f64_e32 v[26:27], v[20:21], v[22:23]
	v_add_f64_e64 v[30:31], v[22:23], -v[30:31]
	s_delay_alu instid0(VALU_DEP_2) | instskip(NEXT) | instid1(VALU_DEP_2)
	v_add_f64_e64 v[20:21], v[26:27], -v[20:21]
	v_add_f64_e64 v[28:29], v[28:29], -v[30:31]
	v_fma_f64 v[30:31], v[24:25], s[16:17], -v[32:33]
	s_delay_alu instid0(VALU_DEP_3) | instskip(NEXT) | instid1(VALU_DEP_3)
	v_add_f64_e64 v[20:21], v[22:23], -v[20:21]
	v_add_f64_e32 v[18:19], v[18:19], v[28:29]
	s_delay_alu instid0(VALU_DEP_3) | instskip(NEXT) | instid1(VALU_DEP_2)
	v_fmac_f64_e32 v[30:31], 0x3c7abc9e3b39803f, v[24:25]
	v_add_f64_e32 v[18:19], v[18:19], v[20:21]
	s_delay_alu instid0(VALU_DEP_2) | instskip(NEXT) | instid1(VALU_DEP_2)
	v_add_f64_e32 v[20:21], v[32:33], v[30:31]
	v_add_f64_e32 v[22:23], v[26:27], v[18:19]
	s_delay_alu instid0(VALU_DEP_2) | instskip(NEXT) | instid1(VALU_DEP_2)
	v_add_f64_e64 v[32:33], v[20:21], -v[32:33]
	v_add_f64_e32 v[24:25], v[20:21], v[22:23]
	v_add_f64_e64 v[26:27], v[22:23], -v[26:27]
	s_delay_alu instid0(VALU_DEP_3) | instskip(NEXT) | instid1(VALU_DEP_3)
	v_add_f64_e64 v[30:31], v[30:31], -v[32:33]
	v_add_f64_e64 v[28:29], v[24:25], -v[20:21]
	s_delay_alu instid0(VALU_DEP_3) | instskip(NEXT) | instid1(VALU_DEP_2)
	v_add_f64_e64 v[18:19], v[18:19], -v[26:27]
	v_add_f64_e64 v[34:35], v[24:25], -v[28:29]
	;; [unrolled: 1-line block ×3, first 2 shown]
	s_delay_alu instid0(VALU_DEP_3) | instskip(NEXT) | instid1(VALU_DEP_3)
	v_add_f64_e32 v[26:27], v[30:31], v[18:19]
	v_add_f64_e64 v[20:21], v[20:21], -v[34:35]
	s_delay_alu instid0(VALU_DEP_1) | instskip(NEXT) | instid1(VALU_DEP_3)
	v_add_f64_e32 v[20:21], v[22:23], v[20:21]
	v_add_f64_e64 v[22:23], v[26:27], -v[30:31]
	s_delay_alu instid0(VALU_DEP_2) | instskip(NEXT) | instid1(VALU_DEP_2)
	v_add_f64_e32 v[20:21], v[26:27], v[20:21]
	v_add_f64_e64 v[26:27], v[26:27], -v[22:23]
	v_add_f64_e64 v[18:19], v[18:19], -v[22:23]
	s_delay_alu instid0(VALU_DEP_3) | instskip(NEXT) | instid1(VALU_DEP_3)
	v_add_f64_e32 v[28:29], v[24:25], v[20:21]
	v_add_f64_e64 v[22:23], v[30:31], -v[26:27]
	s_delay_alu instid0(VALU_DEP_2) | instskip(NEXT) | instid1(VALU_DEP_2)
	v_add_f64_e64 v[24:25], v[28:29], -v[24:25]
	v_add_f64_e32 v[18:19], v[18:19], v[22:23]
	s_delay_alu instid0(VALU_DEP_2) | instskip(NEXT) | instid1(VALU_DEP_1)
	v_add_f64_e64 v[20:21], v[20:21], -v[24:25]
	v_add_f64_e32 v[18:19], v[18:19], v[20:21]
	s_delay_alu instid0(VALU_DEP_1) | instskip(NEXT) | instid1(VALU_DEP_1)
	v_add_f64_e32 v[20:21], v[28:29], v[18:19]
	v_add_f64_e64 v[22:23], v[20:21], -v[28:29]
	v_mul_f64_e32 v[24:25], 0x40180000, v[20:21]
	s_delay_alu instid0(VALU_DEP_2) | instskip(NEXT) | instid1(VALU_DEP_2)
	v_add_f64_e64 v[18:19], v[18:19], -v[22:23]
	v_fma_f64 v[20:21], 0x40180000, v[20:21], -v[24:25]
	v_cmp_class_f64_e64 vcc_lo, v[24:25], 0x204
	s_delay_alu instid0(VALU_DEP_2) | instskip(NEXT) | instid1(VALU_DEP_1)
	v_fmac_f64_e32 v[20:21], 0x40180000, v[18:19]
	v_add_f64_e32 v[18:19], v[24:25], v[20:21]
	s_delay_alu instid0(VALU_DEP_1) | instskip(SKIP_1) | instid1(VALU_DEP_2)
	v_dual_cndmask_b32 v23, v19, v25 :: v_dual_cndmask_b32 v22, v18, v24
	v_add_f64_e64 v[18:19], v[18:19], -v[24:25]
	v_mul_f64_e32 v[26:27], 0x3ff71547652b82fe, v[22:23]
	v_cmp_nlt_f64_e64 s2, 0x40900000, v[22:23]
	v_cmp_neq_f64_e64 vcc_lo, 0x7ff00000, |v[22:23]|
	v_cmp_ngt_f64_e64 s3, 0xc090cc00, v[22:23]
	v_add_f64_e64 v[18:19], v[20:21], -v[18:19]
	v_rndne_f64_e32 v[26:27], v[26:27]
	s_delay_alu instid0(VALU_DEP_2) | instskip(SKIP_1) | instid1(VALU_DEP_2)
	v_dual_cndmask_b32 v19, 0, v19 :: v_dual_cndmask_b32 v18, 0, v18
	s_and_b32 vcc_lo, s3, s2
	v_fmamk_f64 v[28:29], v[26:27], 0xbfe62e42fefa39ef, v[22:23]
	v_cvt_i32_f64_e32 v32, v[26:27]
	s_delay_alu instid0(VALU_DEP_2) | instskip(NEXT) | instid1(VALU_DEP_1)
	v_fmac_f64_e32 v[28:29], 0xbc7abc9e3b39803f, v[26:27]
	v_fmamk_f64 v[30:31], v[28:29], 0x3e5ade156a5dcb37, v[14:15]
	s_delay_alu instid0(VALU_DEP_1) | instskip(NEXT) | instid1(VALU_DEP_1)
	v_fmaak_f64 v[30:31], v[28:29], v[30:31], 0x3ec71dee623fde64
	v_fmaak_f64 v[30:31], v[28:29], v[30:31], 0x3efa01997c89e6b0
	s_delay_alu instid0(VALU_DEP_1) | instskip(NEXT) | instid1(VALU_DEP_1)
	v_fmaak_f64 v[30:31], v[28:29], v[30:31], 0x3f2a01a014761f6e
	v_fmaak_f64 v[30:31], v[28:29], v[30:31], 0x3f56c16c1852b7b0
	;; [unrolled: 3-line block ×4, first 2 shown]
	s_delay_alu instid0(VALU_DEP_1) | instskip(NEXT) | instid1(VALU_DEP_1)
	v_fma_f64 v[30:31], v[28:29], v[30:31], 1.0
	v_fma_f64 v[26:27], v[28:29], v[30:31], 1.0
	s_delay_alu instid0(VALU_DEP_1) | instskip(NEXT) | instid1(VALU_DEP_1)
	v_ldexp_f64 v[24:25], v[26:27], v32
	v_cndmask_b32_e64 v20, 0x7ff00000, v25, s2
	v_cmp_neq_f64_e64 s2, 0x7ff00000, |v[16:17]|
	s_delay_alu instid0(VALU_DEP_2) | instskip(NEXT) | instid1(VALU_DEP_4)
	v_cndmask_b32_e64 v21, 0, v20, s3
	v_cndmask_b32_e32 v20, 0, v24, vcc_lo
	v_cmp_neq_f64_e64 s3, 0, v[16:17]
	s_delay_alu instid0(VALU_DEP_2) | instskip(SKIP_1) | instid1(VALU_DEP_2)
	v_fma_f64 v[18:19], v[20:21], v[18:19], v[20:21]
	v_cmp_class_f64_e64 vcc_lo, v[20:21], 0x204
	v_dual_cndmask_b32 v19, v19, v21 :: v_dual_cndmask_b32 v16, v18, v20
	s_and_b32 vcc_lo, s3, s2
	s_cmp_gt_i32 s20, s21
	s_delay_alu instid0(VALU_DEP_1) | instskip(NEXT) | instid1(VALU_DEP_2)
	v_and_b32_e32 v19, 0x7fffffff, v19
	v_cndmask_b32_e32 v16, 0, v16, vcc_lo
	s_delay_alu instid0(VALU_DEP_2) | instskip(NEXT) | instid1(VALU_DEP_1)
	v_cndmask_b32_e64 v19, 0x7ff00000, v19, s2
	v_cndmask_b32_e64 v17, 0, v19, s3
	v_mul_f64_e64 v[18:19], s[10:11], 4.0
	s_delay_alu instid0(VALU_DEP_2) | instskip(NEXT) | instid1(VALU_DEP_1)
	v_fma_f64 v[16:17], v[16:17], v[16:17], -v[16:17]
	v_fmac_f64_e32 v[2:3], v[18:19], v[16:17]
	s_cbranch_scc1 .LBB0_2
	s_branch .LBB0_4
.LBB0_3:
	v_mov_b64_e32 v[2:3], 0
.LBB0_4:
	s_load_b64 s[2:3], s[0:1], 0x0
	s_wait_xcnt 0x0
	s_mov_b64 s[0:1], 0xc0a35b24dd2f1aa0
	s_delay_alu instid0(VALU_DEP_1) | instid1(SALU_CYCLE_1)
	v_div_scale_f64 v[4:5], null, s[0:1], s[0:1], v[2:3]
	v_div_scale_f64 v[10:11], vcc_lo, v[2:3], s[0:1], v[2:3]
	s_wait_kmcnt 0x0
	v_lshl_add_u64 v[0:1], v[0:1], 3, s[2:3]
	s_delay_alu instid0(VALU_DEP_3) | instskip(SKIP_1) | instid1(TRANS32_DEP_1)
	v_rcp_f64_e32 v[6:7], v[4:5]
	v_nop
	v_fma_f64 v[8:9], -v[4:5], v[6:7], 1.0
	s_delay_alu instid0(VALU_DEP_1) | instskip(NEXT) | instid1(VALU_DEP_1)
	v_fmac_f64_e32 v[6:7], v[6:7], v[8:9]
	v_fma_f64 v[8:9], -v[4:5], v[6:7], 1.0
	s_delay_alu instid0(VALU_DEP_1) | instskip(NEXT) | instid1(VALU_DEP_1)
	v_fmac_f64_e32 v[6:7], v[6:7], v[8:9]
	v_mul_f64_e32 v[8:9], v[10:11], v[6:7]
	s_delay_alu instid0(VALU_DEP_1) | instskip(NEXT) | instid1(VALU_DEP_1)
	v_fma_f64 v[4:5], -v[4:5], v[8:9], v[10:11]
	v_div_fmas_f64 v[4:5], v[4:5], v[6:7], v[8:9]
	s_delay_alu instid0(VALU_DEP_1) | instskip(SKIP_1) | instid1(VALU_DEP_1)
	v_div_fixup_f64 v[2:3], v[4:5], s[0:1], v[2:3]
	s_mov_b64 s[0:1], 0x3e5ade156a5dcb37
	v_mul_f64_e32 v[4:5], 0x3ff71547652b82fe, v[2:3]
	v_cmp_nlt_f64_e32 vcc_lo, 0x40900000, v[2:3]
	s_delay_alu instid0(VALU_DEP_2) | instskip(NEXT) | instid1(VALU_DEP_1)
	v_rndne_f64_e32 v[4:5], v[4:5]
	v_fmamk_f64 v[6:7], v[4:5], 0xbfe62e42fefa39ef, v[2:3]
	v_cvt_i32_f64_e32 v10, v[4:5]
	s_delay_alu instid0(VALU_DEP_2) | instskip(NEXT) | instid1(VALU_DEP_1)
	v_fmamk_f64 v[6:7], v[4:5], 0xbc7abc9e3b39803f, v[6:7]
	v_fmaak_f64 v[8:9], s[0:1], v[6:7], 0x3e928af3fca7ab0c
	v_cmp_ngt_f64_e64 s0, 0xc090cc00, v[2:3]
	s_delay_alu instid0(VALU_DEP_2) | instskip(NEXT) | instid1(VALU_DEP_1)
	v_fmaak_f64 v[8:9], v[6:7], v[8:9], 0x3ec71dee623fde64
	v_fmaak_f64 v[8:9], v[6:7], v[8:9], 0x3efa01997c89e6b0
	s_delay_alu instid0(VALU_DEP_1) | instskip(NEXT) | instid1(VALU_DEP_1)
	v_fmaak_f64 v[8:9], v[6:7], v[8:9], 0x3f2a01a014761f6e
	v_fmaak_f64 v[8:9], v[6:7], v[8:9], 0x3f56c16c1852b7b0
	s_delay_alu instid0(VALU_DEP_1) | instskip(NEXT) | instid1(VALU_DEP_1)
	;; [unrolled: 3-line block ×4, first 2 shown]
	v_fma_f64 v[8:9], v[6:7], v[8:9], 1.0
	v_fma_f64 v[4:5], v[6:7], v[8:9], 1.0
	s_delay_alu instid0(VALU_DEP_1) | instskip(NEXT) | instid1(VALU_DEP_1)
	v_ldexp_f64 v[4:5], v[4:5], v10
	v_cndmask_b32_e32 v5, 0x7ff00000, v5, vcc_lo
	s_and_b32 vcc_lo, s0, vcc_lo
	s_delay_alu instid0(VALU_DEP_1) | instid1(SALU_CYCLE_1)
	v_dual_cndmask_b32 v2, 0, v4, vcc_lo :: v_dual_cndmask_b32 v3, 0, v5, s0
	global_store_b64 v[0:1], v[2:3], off
	s_endpgm
	.section	.rodata,"a",@progbits
	.p2align	6, 0x0
	.amdhsa_kernel _Z10insertionsPdPK13StructureAtomid
		.amdhsa_group_segment_fixed_size 0
		.amdhsa_private_segment_fixed_size 0
		.amdhsa_kernarg_size 32
		.amdhsa_user_sgpr_count 2
		.amdhsa_user_sgpr_dispatch_ptr 0
		.amdhsa_user_sgpr_queue_ptr 0
		.amdhsa_user_sgpr_kernarg_segment_ptr 1
		.amdhsa_user_sgpr_dispatch_id 0
		.amdhsa_user_sgpr_kernarg_preload_length 0
		.amdhsa_user_sgpr_kernarg_preload_offset 0
		.amdhsa_user_sgpr_private_segment_size 0
		.amdhsa_wavefront_size32 1
		.amdhsa_uses_dynamic_stack 0
		.amdhsa_enable_private_segment 0
		.amdhsa_system_sgpr_workgroup_id_x 1
		.amdhsa_system_sgpr_workgroup_id_y 0
		.amdhsa_system_sgpr_workgroup_id_z 0
		.amdhsa_system_sgpr_workgroup_info 0
		.amdhsa_system_vgpr_workitem_id 0
		.amdhsa_next_free_vgpr 40
		.amdhsa_next_free_sgpr 22
		.amdhsa_named_barrier_count 0
		.amdhsa_reserve_vcc 1
		.amdhsa_float_round_mode_32 0
		.amdhsa_float_round_mode_16_64 0
		.amdhsa_float_denorm_mode_32 3
		.amdhsa_float_denorm_mode_16_64 3
		.amdhsa_fp16_overflow 0
		.amdhsa_memory_ordered 1
		.amdhsa_forward_progress 1
		.amdhsa_inst_pref_size 22
		.amdhsa_round_robin_scheduling 0
		.amdhsa_exception_fp_ieee_invalid_op 0
		.amdhsa_exception_fp_denorm_src 0
		.amdhsa_exception_fp_ieee_div_zero 0
		.amdhsa_exception_fp_ieee_overflow 0
		.amdhsa_exception_fp_ieee_underflow 0
		.amdhsa_exception_fp_ieee_inexact 0
		.amdhsa_exception_int_div_zero 0
	.end_amdhsa_kernel
	.text
.Lfunc_end0:
	.size	_Z10insertionsPdPK13StructureAtomid, .Lfunc_end0-_Z10insertionsPdPK13StructureAtomid
                                        ; -- End function
	.set _Z10insertionsPdPK13StructureAtomid.num_vgpr, 40
	.set _Z10insertionsPdPK13StructureAtomid.num_agpr, 0
	.set _Z10insertionsPdPK13StructureAtomid.numbered_sgpr, 22
	.set _Z10insertionsPdPK13StructureAtomid.num_named_barrier, 0
	.set _Z10insertionsPdPK13StructureAtomid.private_seg_size, 0
	.set _Z10insertionsPdPK13StructureAtomid.uses_vcc, 1
	.set _Z10insertionsPdPK13StructureAtomid.uses_flat_scratch, 0
	.set _Z10insertionsPdPK13StructureAtomid.has_dyn_sized_stack, 0
	.set _Z10insertionsPdPK13StructureAtomid.has_recursion, 0
	.set _Z10insertionsPdPK13StructureAtomid.has_indirect_call, 0
	.section	.AMDGPU.csdata,"",@progbits
; Kernel info:
; codeLenInByte = 2788
; TotalNumSgprs: 24
; NumVgprs: 40
; ScratchSize: 0
; MemoryBound: 0
; FloatMode: 240
; IeeeMode: 1
; LDSByteSize: 0 bytes/workgroup (compile time only)
; SGPRBlocks: 0
; VGPRBlocks: 2
; NumSGPRsForWavesPerEU: 24
; NumVGPRsForWavesPerEU: 40
; NamedBarCnt: 0
; Occupancy: 16
; WaveLimiterHint : 0
; COMPUTE_PGM_RSRC2:SCRATCH_EN: 0
; COMPUTE_PGM_RSRC2:USER_SGPR: 2
; COMPUTE_PGM_RSRC2:TRAP_HANDLER: 0
; COMPUTE_PGM_RSRC2:TGID_X_EN: 1
; COMPUTE_PGM_RSRC2:TGID_Y_EN: 0
; COMPUTE_PGM_RSRC2:TGID_Z_EN: 0
; COMPUTE_PGM_RSRC2:TIDIG_COMP_CNT: 0
	.text
	.p2alignl 7, 3214868480
	.fill 96, 4, 3214868480
	.section	.AMDGPU.gpr_maximums,"",@progbits
	.set amdgpu.max_num_vgpr, 0
	.set amdgpu.max_num_agpr, 0
	.set amdgpu.max_num_sgpr, 0
	.text
	.type	__hip_cuid_ca56fbbf27c9a497,@object ; @__hip_cuid_ca56fbbf27c9a497
	.section	.bss,"aw",@nobits
	.globl	__hip_cuid_ca56fbbf27c9a497
__hip_cuid_ca56fbbf27c9a497:
	.byte	0                               ; 0x0
	.size	__hip_cuid_ca56fbbf27c9a497, 1

	.ident	"AMD clang version 22.0.0git (https://github.com/RadeonOpenCompute/llvm-project roc-7.2.4 26084 f58b06dce1f9c15707c5f808fd002e18c2accf7e)"
	.section	".note.GNU-stack","",@progbits
	.addrsig
	.addrsig_sym __hip_cuid_ca56fbbf27c9a497
	.amdgpu_metadata
---
amdhsa.kernels:
  - .args:
      - .actual_access:  write_only
        .address_space:  global
        .offset:         0
        .size:           8
        .value_kind:     global_buffer
      - .actual_access:  read_only
        .address_space:  global
        .offset:         8
        .size:           8
        .value_kind:     global_buffer
      - .offset:         16
        .size:           4
        .value_kind:     by_value
      - .offset:         24
        .size:           8
        .value_kind:     by_value
    .group_segment_fixed_size: 0
    .kernarg_segment_align: 8
    .kernarg_segment_size: 32
    .language:       OpenCL C
    .language_version:
      - 2
      - 0
    .max_flat_workgroup_size: 1024
    .name:           _Z10insertionsPdPK13StructureAtomid
    .private_segment_fixed_size: 0
    .sgpr_count:     24
    .sgpr_spill_count: 0
    .symbol:         _Z10insertionsPdPK13StructureAtomid.kd
    .uniform_work_group_size: 1
    .uses_dynamic_stack: false
    .vgpr_count:     40
    .vgpr_spill_count: 0
    .wavefront_size: 32
amdhsa.target:   amdgcn-amd-amdhsa--gfx1250
amdhsa.version:
  - 1
  - 2
...

	.end_amdgpu_metadata
